;; amdgpu-corpus repo=ROCm/rocFFT kind=compiled arch=gfx906 opt=O3
	.text
	.amdgcn_target "amdgcn-amd-amdhsa--gfx906"
	.amdhsa_code_object_version 6
	.protected	bluestein_single_fwd_len525_dim1_dp_op_CI_CI ; -- Begin function bluestein_single_fwd_len525_dim1_dp_op_CI_CI
	.globl	bluestein_single_fwd_len525_dim1_dp_op_CI_CI
	.p2align	8
	.type	bluestein_single_fwd_len525_dim1_dp_op_CI_CI,@function
bluestein_single_fwd_len525_dim1_dp_op_CI_CI: ; @bluestein_single_fwd_len525_dim1_dp_op_CI_CI
; %bb.0:
	s_load_dwordx4 s[0:3], s[4:5], 0x28
	v_mul_u32_u24_e32 v1, 0x271, v0
	v_add_u32_sdwa v76, s6, v1 dst_sel:DWORD dst_unused:UNUSED_PAD src0_sel:DWORD src1_sel:WORD_1
	v_mov_b32_e32 v77, 0
	s_waitcnt lgkmcnt(0)
	v_cmp_gt_u64_e32 vcc, s[0:1], v[76:77]
	s_and_saveexec_b64 s[0:1], vcc
	s_cbranch_execz .LBB0_23
; %bb.1:
	s_load_dwordx2 s[14:15], s[4:5], 0x0
	s_load_dwordx2 s[12:13], s[4:5], 0x38
	s_movk_i32 s0, 0x69
	v_mul_lo_u16_sdwa v1, v1, s0 dst_sel:DWORD dst_unused:UNUSED_PAD src0_sel:WORD_1 src1_sel:DWORD
	v_sub_u16_e32 v97, v0, v1
	s_movk_i32 s0, 0x4b
	v_cmp_gt_u16_e64 s[0:1], s0, v97
	v_lshlrev_b32_e32 v98, 4, v97
	s_and_saveexec_b64 s[6:7], s[0:1]
	s_cbranch_execz .LBB0_3
; %bb.2:
	s_load_dwordx2 s[8:9], s[4:5], 0x18
	s_waitcnt lgkmcnt(0)
	v_mov_b32_e32 v24, s15
	s_load_dwordx4 s[8:11], s[8:9], 0x0
	s_waitcnt lgkmcnt(0)
	v_mad_u64_u32 v[0:1], s[16:17], s10, v76, 0
	v_mad_u64_u32 v[2:3], s[16:17], s8, v97, 0
	;; [unrolled: 1-line block ×4, first 2 shown]
	v_mov_b32_e32 v1, v4
	v_lshlrev_b64 v[0:1], 4, v[0:1]
	v_mov_b32_e32 v3, v5
	v_mov_b32_e32 v6, s3
	v_lshlrev_b64 v[2:3], 4, v[2:3]
	v_add_co_u32_e32 v0, vcc, s2, v0
	v_addc_co_u32_e32 v1, vcc, v6, v1, vcc
	v_add_co_u32_e32 v16, vcc, v0, v2
	s_mul_i32 s2, s9, 0x4b0
	s_mul_hi_u32 s3, s8, 0x4b0
	v_addc_co_u32_e32 v17, vcc, v1, v3, vcc
	s_mulk_i32 s8, 0x4b0
	s_add_i32 s2, s3, s2
	v_mov_b32_e32 v8, s2
	v_add_co_u32_e32 v32, vcc, s8, v16
	v_addc_co_u32_e32 v33, vcc, v17, v8, vcc
	v_add_co_u32_e32 v25, vcc, s14, v98
	s_movk_i32 s3, 0x1000
	v_addc_co_u32_e32 v24, vcc, 0, v24, vcc
	v_add_co_u32_e32 v56, vcc, s3, v25
	v_addc_co_u32_e32 v57, vcc, 0, v24, vcc
	v_mov_b32_e32 v34, s2
	v_add_co_u32_e32 v40, vcc, s8, v32
	v_addc_co_u32_e32 v41, vcc, v33, v34, vcc
	v_mov_b32_e32 v35, s2
	v_add_co_u32_e32 v42, vcc, s8, v40
	v_addc_co_u32_e32 v43, vcc, v41, v35, vcc
	global_load_dwordx4 v[0:3], v98, s[14:15]
	global_load_dwordx4 v[4:7], v98, s[14:15] offset:1200
	global_load_dwordx4 v[8:11], v[16:17], off
	global_load_dwordx4 v[12:15], v[32:33], off
	v_mov_b32_e32 v45, s2
	v_add_co_u32_e32 v44, vcc, s8, v42
	v_addc_co_u32_e32 v45, vcc, v43, v45, vcc
	global_load_dwordx4 v[16:19], v98, s[14:15] offset:2400
	global_load_dwordx4 v[20:23], v98, s[14:15] offset:3600
	global_load_dwordx4 v[24:27], v[56:57], off offset:704
	global_load_dwordx4 v[28:31], v[56:57], off offset:1904
	v_mov_b32_e32 v46, s2
	global_load_dwordx4 v[32:35], v[40:41], off
	global_load_dwordx4 v[36:39], v[42:43], off
	v_add_co_u32_e32 v48, vcc, s8, v44
	global_load_dwordx4 v[40:43], v[44:45], off
	v_addc_co_u32_e32 v49, vcc, v45, v46, vcc
	v_mov_b32_e32 v50, s2
	global_load_dwordx4 v[44:47], v[48:49], off
	v_add_co_u32_e32 v58, vcc, s8, v48
	v_addc_co_u32_e32 v59, vcc, v49, v50, vcc
	global_load_dwordx4 v[48:51], v[56:57], off offset:3104
	global_load_dwordx4 v[52:55], v[58:59], off
	s_waitcnt vmcnt(11)
	v_mul_f64 v[56:57], v[10:11], v[2:3]
	v_mul_f64 v[2:3], v[8:9], v[2:3]
	s_waitcnt vmcnt(10)
	v_mul_f64 v[58:59], v[14:15], v[6:7]
	v_mul_f64 v[60:61], v[12:13], v[6:7]
	v_fma_f64 v[6:7], v[8:9], v[0:1], v[56:57]
	s_waitcnt vmcnt(5)
	v_mul_f64 v[62:63], v[34:35], v[18:19]
	v_mul_f64 v[18:19], v[32:33], v[18:19]
	s_waitcnt vmcnt(4)
	v_mul_f64 v[64:65], v[38:39], v[22:23]
	v_mul_f64 v[22:23], v[36:37], v[22:23]
	;; [unrolled: 3-line block ×3, first 2 shown]
	v_fma_f64 v[8:9], v[10:11], v[0:1], -v[2:3]
	v_fma_f64 v[0:1], v[12:13], v[4:5], v[58:59]
	s_waitcnt vmcnt(2)
	v_mul_f64 v[68:69], v[46:47], v[30:31]
	v_mul_f64 v[30:31], v[44:45], v[30:31]
	v_fma_f64 v[2:3], v[14:15], v[4:5], -v[60:61]
	v_fma_f64 v[10:11], v[32:33], v[16:17], v[62:63]
	v_fma_f64 v[12:13], v[34:35], v[16:17], -v[18:19]
	s_waitcnt vmcnt(0)
	v_mul_f64 v[70:71], v[54:55], v[50:51]
	v_mul_f64 v[50:51], v[52:53], v[50:51]
	v_fma_f64 v[14:15], v[36:37], v[20:21], v[64:65]
	v_fma_f64 v[16:17], v[38:39], v[20:21], -v[22:23]
	v_fma_f64 v[18:19], v[40:41], v[24:25], v[66:67]
	v_fma_f64 v[20:21], v[42:43], v[24:25], -v[26:27]
	v_fma_f64 v[22:23], v[44:45], v[28:29], v[68:69]
	v_fma_f64 v[24:25], v[46:47], v[28:29], -v[30:31]
	v_fma_f64 v[26:27], v[52:53], v[48:49], v[70:71]
	v_fma_f64 v[28:29], v[54:55], v[48:49], -v[50:51]
	ds_write_b128 v98, v[6:9]
	ds_write_b128 v98, v[0:3] offset:1200
	ds_write_b128 v98, v[10:13] offset:2400
	;; [unrolled: 1-line block ×6, first 2 shown]
.LBB0_3:
	s_or_b64 exec, exec, s[6:7]
	s_waitcnt lgkmcnt(0)
	s_barrier
	s_waitcnt lgkmcnt(0)
                                        ; implicit-def: $vgpr0_vgpr1
                                        ; implicit-def: $vgpr4_vgpr5
                                        ; implicit-def: $vgpr8_vgpr9
                                        ; implicit-def: $vgpr12_vgpr13
                                        ; implicit-def: $vgpr16_vgpr17
                                        ; implicit-def: $vgpr20_vgpr21
                                        ; implicit-def: $vgpr24_vgpr25
	s_and_saveexec_b64 s[2:3], s[0:1]
	s_cbranch_execz .LBB0_5
; %bb.4:
	ds_read_b128 v[0:3], v98
	ds_read_b128 v[4:7], v98 offset:1200
	ds_read_b128 v[8:11], v98 offset:2400
	ds_read_b128 v[12:15], v98 offset:3600
	ds_read_b128 v[16:19], v98 offset:4800
	ds_read_b128 v[20:23], v98 offset:6000
	ds_read_b128 v[24:27], v98 offset:7200
.LBB0_5:
	s_or_b64 exec, exec, s[2:3]
	s_waitcnt lgkmcnt(0)
	v_add_f64 v[28:29], v[4:5], v[24:25]
	v_add_f64 v[30:31], v[6:7], v[26:27]
	v_add_f64 v[4:5], v[4:5], -v[24:25]
	v_add_f64 v[6:7], v[6:7], -v[26:27]
	v_add_f64 v[24:25], v[8:9], v[20:21]
	v_add_f64 v[26:27], v[10:11], v[22:23]
	v_add_f64 v[8:9], v[8:9], -v[20:21]
	v_add_f64 v[10:11], v[10:11], -v[22:23]
	;; [unrolled: 4-line block ×4, first 2 shown]
	v_add_f64 v[28:29], v[28:29], -v[20:21]
	v_add_f64 v[30:31], v[30:31], -v[22:23]
	v_add_f64 v[36:37], v[12:13], v[8:9]
	v_add_f64 v[38:39], v[14:15], v[10:11]
	v_add_f64 v[24:25], v[20:21], -v[24:25]
	v_add_f64 v[26:27], v[22:23], -v[26:27]
	;; [unrolled: 1-line block ×4, first 2 shown]
	v_add_f64 v[16:17], v[20:21], v[16:17]
	v_add_f64 v[18:19], v[22:23], v[18:19]
	v_add_f64 v[8:9], v[8:9], -v[4:5]
	v_add_f64 v[10:11], v[10:11], -v[6:7]
	s_mov_b32 s2, 0x37e14327
	s_mov_b32 s3, 0x3fe948f6
	v_add_f64 v[12:13], v[4:5], -v[12:13]
	v_add_f64 v[14:15], v[6:7], -v[14:15]
	v_add_f64 v[20:21], v[36:37], v[4:5]
	v_add_f64 v[22:23], v[38:39], v[6:7]
	v_mul_f64 v[4:5], v[28:29], s[2:3]
	v_mul_f64 v[6:7], v[30:31], s[2:3]
	s_mov_b32 s2, 0x36b3c0b5
	s_mov_b32 s3, 0x3fac98ee
	;; [unrolled: 1-line block ×3, first 2 shown]
	v_mul_f64 v[28:29], v[24:25], s[2:3]
	v_mul_f64 v[30:31], v[26:27], s[2:3]
	s_mov_b32 s7, 0xbfe11646
	v_mul_f64 v[36:37], v[40:41], s[6:7]
	v_mul_f64 v[38:39], v[42:43], s[6:7]
	s_mov_b32 s6, 0x429ad128
	s_mov_b32 s7, 0x3febfeb5
	v_add_f64 v[0:1], v[0:1], v[16:17]
	v_add_f64 v[2:3], v[2:3], v[18:19]
	v_mul_f64 v[40:41], v[8:9], s[6:7]
	v_mul_f64 v[42:43], v[10:11], s[6:7]
	v_fma_f64 v[24:25], v[24:25], s[2:3], v[4:5]
	v_fma_f64 v[26:27], v[26:27], s[2:3], v[6:7]
	s_mov_b32 s3, 0x3fe77f67
	s_mov_b32 s2, 0x5476071b
	v_fma_f64 v[28:29], v[32:33], s[2:3], -v[28:29]
	v_fma_f64 v[30:31], v[34:35], s[2:3], -v[30:31]
	s_mov_b32 s3, 0xbfe77f67
	s_mov_b32 s8, 0xaaaaaaaa
	v_fma_f64 v[32:33], v[32:33], s[2:3], -v[4:5]
	v_fma_f64 v[34:35], v[34:35], s[2:3], -v[6:7]
	s_mov_b32 s3, 0x3fd5d0dc
	s_mov_b32 s2, 0xb247c609
	;; [unrolled: 1-line block ×3, first 2 shown]
	v_fma_f64 v[44:45], v[12:13], s[2:3], v[36:37]
	v_fma_f64 v[46:47], v[14:15], s[2:3], v[38:39]
	s_mov_b32 s3, 0xbfd5d0dc
	v_fma_f64 v[16:17], v[16:17], s[8:9], v[0:1]
	v_fma_f64 v[18:19], v[18:19], s[8:9], v[2:3]
	v_fma_f64 v[8:9], v[8:9], s[6:7], -v[36:37]
	v_fma_f64 v[10:11], v[10:11], s[6:7], -v[38:39]
	;; [unrolled: 1-line block ×4, first 2 shown]
	s_mov_b32 s2, 0x37c3f68c
	s_mov_b32 s3, 0x3fdc38aa
	v_add_f64 v[4:5], v[24:25], v[16:17]
	v_add_f64 v[6:7], v[26:27], v[18:19]
	;; [unrolled: 1-line block ×4, first 2 shown]
	v_fma_f64 v[36:37], v[22:23], s[2:3], v[10:11]
	v_fma_f64 v[38:39], v[20:21], s[2:3], v[8:9]
	v_add_f64 v[8:9], v[32:33], v[16:17]
	v_add_f64 v[28:29], v[34:35], v[18:19]
	v_fma_f64 v[10:11], v[22:23], s[2:3], v[14:15]
	v_fma_f64 v[30:31], v[20:21], s[2:3], v[12:13]
	;; [unrolled: 1-line block ×4, first 2 shown]
	v_add_f64 v[16:17], v[24:25], -v[36:37]
	v_add_f64 v[18:19], v[38:39], v[26:27]
	v_add_f64 v[20:21], v[24:25], v[36:37]
	v_add_f64 v[22:23], v[26:27], -v[38:39]
	v_add_f64 v[24:25], v[8:9], -v[10:11]
	v_add_f64 v[26:27], v[30:31], v[28:29]
	v_add_f64 v[48:49], v[4:5], -v[12:13]
	v_add_f64 v[50:51], v[14:15], v[6:7]
	s_load_dwordx2 s[6:7], s[4:5], 0x20
	s_load_dwordx2 s[8:9], s[4:5], 0x8
	v_mul_lo_u16_e32 v100, 7, v97
	s_waitcnt lgkmcnt(0)
	s_barrier
	s_and_saveexec_b64 s[2:3], s[0:1]
	s_cbranch_execz .LBB0_7
; %bb.6:
	v_add_f64 v[6:7], v[6:7], -v[14:15]
	v_add_f64 v[4:5], v[4:5], v[12:13]
	v_add_f64 v[30:31], v[28:29], -v[30:31]
	v_add_f64 v[28:29], v[8:9], v[10:11]
	v_lshlrev_b32_e32 v8, 4, v100
	ds_write_b128 v8, v[0:3]
	ds_write_b128 v8, v[16:19] offset:48
	ds_write_b128 v8, v[4:7] offset:16
	;; [unrolled: 1-line block ×6, first 2 shown]
.LBB0_7:
	s_or_b64 exec, exec, s[2:3]
	s_waitcnt lgkmcnt(0)
	s_barrier
	ds_read_b128 v[28:31], v98
	ds_read_b128 v[36:39], v98 offset:2800
	ds_read_b128 v[32:35], v98 offset:5600
	s_movk_i32 s2, 0x46
	v_cmp_gt_u16_e64 s[2:3], s2, v97
	s_and_saveexec_b64 s[4:5], s[2:3]
	s_cbranch_execz .LBB0_9
; %bb.8:
	ds_read_b128 v[16:19], v98 offset:1680
	ds_read_b128 v[20:23], v98 offset:4480
	ds_read_b128 v[24:27], v98 offset:7280
.LBB0_9:
	s_or_b64 exec, exec, s[4:5]
	v_mov_b32_e32 v0, 37
	v_mul_lo_u16_sdwa v1, v97, v0 dst_sel:DWORD dst_unused:UNUSED_PAD src0_sel:BYTE_0 src1_sel:DWORD
	v_sub_u16_sdwa v2, v97, v1 dst_sel:DWORD dst_unused:UNUSED_PAD src0_sel:DWORD src1_sel:BYTE_1
	v_lshrrev_b16_e32 v2, 1, v2
	v_and_b32_e32 v2, 0x7f, v2
	v_add_u16_sdwa v1, v2, v1 dst_sel:DWORD dst_unused:UNUSED_PAD src0_sel:DWORD src1_sel:BYTE_1
	v_lshrrev_b16_e32 v60, 2, v1
	v_mul_lo_u16_e32 v1, 7, v60
	v_sub_u16_e32 v1, v97, v1
	v_and_b32_e32 v61, 0xff, v1
	v_lshlrev_b32_e32 v1, 5, v61
	global_load_dwordx4 v[8:11], v1, s[8:9] offset:16
	global_load_dwordx4 v[12:15], v1, s[8:9]
	v_add_u16_e32 v1, 0x69, v97
	v_mul_lo_u16_sdwa v0, v1, v0 dst_sel:DWORD dst_unused:UNUSED_PAD src0_sel:BYTE_0 src1_sel:DWORD
	v_sub_u16_sdwa v2, v1, v0 dst_sel:DWORD dst_unused:UNUSED_PAD src0_sel:DWORD src1_sel:BYTE_1
	v_lshrrev_b16_e32 v2, 1, v2
	v_and_b32_e32 v2, 0x7f, v2
	v_add_u16_sdwa v0, v2, v0 dst_sel:DWORD dst_unused:UNUSED_PAD src0_sel:DWORD src1_sel:BYTE_1
	v_lshrrev_b16_e32 v62, 2, v0
	v_mul_lo_u16_e32 v0, 7, v62
	v_sub_u16_e32 v0, v1, v0
	v_and_b32_e32 v99, 0xff, v0
	v_lshlrev_b32_e32 v40, 5, v99
	global_load_dwordx4 v[4:7], v40, s[8:9]
	global_load_dwordx4 v[0:3], v40, s[8:9] offset:16
	s_mov_b32 s10, 0xe8584caa
	s_mov_b32 s11, 0x3febb67a
	;; [unrolled: 1-line block ×4, first 2 shown]
	s_load_dwordx4 s[4:7], s[6:7], 0x0
	s_movk_i32 s24, 0x69
	v_mul_u32_u24_e32 v101, 21, v62
	s_waitcnt vmcnt(0) lgkmcnt(0)
	s_barrier
	v_mul_f64 v[44:45], v[34:35], v[10:11]
	v_mul_f64 v[40:41], v[38:39], v[14:15]
	;; [unrolled: 1-line block ×4, first 2 shown]
	v_fma_f64 v[36:37], v[36:37], v[12:13], -v[40:41]
	v_fma_f64 v[38:39], v[38:39], v[12:13], v[42:43]
	v_fma_f64 v[40:41], v[32:33], v[8:9], -v[44:45]
	v_mul_f64 v[52:53], v[22:23], v[6:7]
	v_mul_f64 v[54:55], v[20:21], v[6:7]
	;; [unrolled: 1-line block ×4, first 2 shown]
	v_fma_f64 v[42:43], v[34:35], v[8:9], v[46:47]
	v_add_f64 v[44:45], v[28:29], v[36:37]
	v_fma_f64 v[32:33], v[20:21], v[4:5], -v[52:53]
	v_fma_f64 v[34:35], v[22:23], v[4:5], v[54:55]
	v_fma_f64 v[20:21], v[24:25], v[0:1], -v[56:57]
	v_fma_f64 v[22:23], v[26:27], v[0:1], v[58:59]
	v_mul_u32_u24_e32 v24, 21, v60
	v_add_lshl_u32 v102, v24, v61, 4
	v_add_f64 v[24:25], v[36:37], v[40:41]
	v_add_f64 v[46:47], v[38:39], v[42:43]
	v_add_f64 v[52:53], v[38:39], -v[42:43]
	v_add_f64 v[38:39], v[30:31], v[38:39]
	v_add_f64 v[54:55], v[32:33], v[20:21]
	;; [unrolled: 1-line block ×3, first 2 shown]
	v_add_f64 v[26:27], v[34:35], -v[22:23]
	v_add_f64 v[58:59], v[36:37], -v[40:41]
	v_fma_f64 v[60:61], v[24:25], -0.5, v[28:29]
	v_fma_f64 v[46:47], v[46:47], -0.5, v[30:31]
	v_add_f64 v[30:31], v[32:33], -v[20:21]
	v_add_f64 v[36:37], v[44:45], v[40:41]
	v_fma_f64 v[24:25], v[54:55], -0.5, v[16:17]
	v_fma_f64 v[28:29], v[56:57], -0.5, v[18:19]
	v_add_f64 v[38:39], v[38:39], v[42:43]
	v_fma_f64 v[40:41], v[52:53], s[10:11], v[60:61]
	v_fma_f64 v[44:45], v[52:53], s[16:17], v[60:61]
	;; [unrolled: 1-line block ×6, first 2 shown]
	ds_write_b128 v102, v[36:39]
	ds_write_b128 v102, v[40:43] offset:112
	ds_write_b128 v102, v[44:47] offset:224
	s_and_saveexec_b64 s[16:17], s[2:3]
	s_cbranch_execz .LBB0_11
; %bb.10:
	v_add_f64 v[34:35], v[18:19], v[34:35]
	v_add_f64 v[16:17], v[16:17], v[32:33]
	v_mul_f64 v[30:31], v[30:31], s[10:11]
	v_mul_f64 v[26:27], v[26:27], s[10:11]
	v_add_f64 v[22:23], v[34:35], v[22:23]
	v_add_f64 v[20:21], v[16:17], v[20:21]
	v_add_f64 v[18:19], v[28:29], -v[30:31]
	v_add_f64 v[16:17], v[26:27], v[24:25]
	v_add_lshl_u32 v24, v101, v99, 4
	ds_write_b128 v24, v[20:23]
	ds_write_b128 v24, v[16:19] offset:112
	ds_write_b128 v24, v[52:55] offset:224
.LBB0_11:
	s_or_b64 exec, exec, s[16:17]
	s_movk_i32 s10, 0x87
	v_mul_lo_u16_sdwa v16, v97, s10 dst_sel:DWORD dst_unused:UNUSED_PAD src0_sel:BYTE_0 src1_sel:DWORD
	v_sub_u16_sdwa v17, v97, v16 dst_sel:DWORD dst_unused:UNUSED_PAD src0_sel:DWORD src1_sel:BYTE_1
	v_lshrrev_b16_e32 v17, 1, v17
	v_and_b32_e32 v17, 0x7f, v17
	v_add_u16_sdwa v16, v17, v16 dst_sel:DWORD dst_unused:UNUSED_PAD src0_sel:DWORD src1_sel:BYTE_1
	v_lshrrev_b16_e32 v16, 4, v16
	v_and_b32_e32 v77, 15, v16
	v_mul_lo_u16_e32 v16, 21, v77
	v_sub_u16_e32 v16, v97, v16
	v_and_b32_e32 v78, 0xff, v16
	v_lshlrev_b32_e32 v32, 6, v78
	s_waitcnt lgkmcnt(0)
	s_barrier
	global_load_dwordx4 v[28:31], v32, s[8:9] offset:224
	global_load_dwordx4 v[24:27], v32, s[8:9] offset:240
	global_load_dwordx4 v[20:23], v32, s[8:9] offset:256
	global_load_dwordx4 v[16:19], v32, s[8:9] offset:272
	ds_read_b128 v[32:35], v98
	ds_read_b128 v[36:39], v98 offset:1680
	ds_read_b128 v[40:43], v98 offset:3360
	;; [unrolled: 1-line block ×4, first 2 shown]
	s_mov_b32 s18, 0x134454ff
	s_mov_b32 s19, 0x3fee6f0e
	s_mov_b32 s23, 0xbfee6f0e
	s_mov_b32 s22, s18
	s_mov_b32 s10, 0x4755a5e
	s_mov_b32 s11, 0x3fe2cf23
	s_mov_b32 s21, 0xbfe2cf23
	s_mov_b32 s20, s10
	s_mov_b32 s16, 0x372fe950
	s_mov_b32 s17, 0x3fd3c6ef
	v_lshlrev_b32_e32 v93, 6, v97
	s_waitcnt vmcnt(0) lgkmcnt(0)
	s_barrier
	v_mul_f64 v[60:61], v[38:39], v[30:31]
	v_mul_f64 v[62:63], v[36:37], v[30:31]
	v_mul_f64 v[64:65], v[42:43], v[26:27]
	v_mul_f64 v[66:67], v[40:41], v[26:27]
	v_mul_f64 v[68:69], v[46:47], v[22:23]
	v_mul_f64 v[72:73], v[44:45], v[22:23]
	v_mul_f64 v[74:75], v[58:59], v[18:19]
	v_mul_f64 v[70:71], v[56:57], v[18:19]
	v_fma_f64 v[36:37], v[36:37], v[28:29], -v[60:61]
	v_fma_f64 v[38:39], v[38:39], v[28:29], v[62:63]
	v_fma_f64 v[40:41], v[40:41], v[24:25], -v[64:65]
	v_fma_f64 v[42:43], v[42:43], v[24:25], v[66:67]
	;; [unrolled: 2-line block ×4, first 2 shown]
	v_mul_u32_u24_sdwa v60, v77, s24 dst_sel:DWORD dst_unused:UNUSED_PAD src0_sel:WORD_0 src1_sel:DWORD
	v_add_lshl_u32 v103, v60, v78, 4
	v_add_f64 v[60:61], v[32:33], v[36:37]
	v_add_f64 v[68:69], v[36:37], -v[40:41]
	v_add_f64 v[62:63], v[40:41], v[44:45]
	v_add_f64 v[79:80], v[34:35], v[38:39]
	v_add_f64 v[70:71], v[56:57], -v[44:45]
	v_add_f64 v[81:82], v[42:43], v[46:47]
	v_add_f64 v[72:73], v[36:37], v[56:57]
	;; [unrolled: 1-line block ×3, first 2 shown]
	v_add_f64 v[64:65], v[38:39], -v[58:59]
	v_add_f64 v[66:67], v[42:43], -v[46:47]
	;; [unrolled: 1-line block ×9, first 2 shown]
	v_add_f64 v[40:41], v[60:61], v[40:41]
	v_fma_f64 v[60:61], v[62:63], -0.5, v[32:33]
	v_add_f64 v[62:63], v[68:69], v[70:71]
	v_add_f64 v[42:43], v[79:80], v[42:43]
	v_fma_f64 v[70:71], v[81:82], -0.5, v[34:35]
	v_fma_f64 v[32:33], v[72:73], -0.5, v[32:33]
	;; [unrolled: 1-line block ×3, first 2 shown]
	v_add_f64 v[87:88], v[58:59], -v[46:47]
	v_add_f64 v[68:69], v[74:75], v[77:78]
	v_add_f64 v[74:75], v[38:39], v[91:92]
	;; [unrolled: 1-line block ×3, first 2 shown]
	v_fma_f64 v[40:41], v[64:65], s[18:19], v[60:61]
	v_add_f64 v[42:43], v[42:43], v[46:47]
	v_fma_f64 v[46:47], v[36:37], s[22:23], v[70:71]
	v_fma_f64 v[44:45], v[64:65], s[22:23], v[60:61]
	v_fma_f64 v[60:61], v[66:67], s[22:23], v[32:33]
	v_fma_f64 v[79:80], v[83:84], s[18:19], v[34:35]
	v_fma_f64 v[77:78], v[66:67], s[18:19], v[32:33]
	v_fma_f64 v[81:82], v[83:84], s[22:23], v[34:35]
	v_fma_f64 v[70:71], v[36:37], s[18:19], v[70:71]
	v_add_f64 v[72:73], v[85:86], v[87:88]
	v_add_f64 v[32:33], v[38:39], v[56:57]
	v_fma_f64 v[38:39], v[66:67], s[10:11], v[40:41]
	v_add_f64 v[34:35], v[42:43], v[58:59]
	v_fma_f64 v[42:43], v[83:84], s[20:21], v[46:47]
	v_fma_f64 v[40:41], v[66:67], s[20:21], v[44:45]
	;; [unrolled: 1-line block ×15, first 2 shown]
	ds_write_b128 v103, v[32:35]
	ds_write_b128 v103, v[36:39] offset:336
	ds_write_b128 v103, v[44:47] offset:672
	;; [unrolled: 1-line block ×4, first 2 shown]
	s_waitcnt lgkmcnt(0)
	s_barrier
	global_load_dwordx4 v[44:47], v93, s[8:9] offset:1568
	global_load_dwordx4 v[40:43], v93, s[8:9] offset:1584
	;; [unrolled: 1-line block ×4, first 2 shown]
	ds_read_b128 v[56:59], v98 offset:1680
	ds_read_b128 v[60:63], v98
	ds_read_b128 v[64:67], v98 offset:3360
	ds_read_b128 v[68:71], v98 offset:5040
	;; [unrolled: 1-line block ×3, first 2 shown]
	s_waitcnt vmcnt(3) lgkmcnt(4)
	v_mul_f64 v[77:78], v[58:59], v[46:47]
	v_mul_f64 v[79:80], v[56:57], v[46:47]
	s_waitcnt vmcnt(2) lgkmcnt(2)
	v_mul_f64 v[81:82], v[66:67], v[42:43]
	v_mul_f64 v[83:84], v[64:65], v[42:43]
	s_waitcnt vmcnt(1) lgkmcnt(1)
	v_mul_f64 v[85:86], v[70:71], v[38:39]
	s_waitcnt vmcnt(0) lgkmcnt(0)
	v_mul_f64 v[87:88], v[74:75], v[34:35]
	v_mul_f64 v[89:90], v[68:69], v[38:39]
	;; [unrolled: 1-line block ×3, first 2 shown]
	v_fma_f64 v[56:57], v[56:57], v[44:45], -v[77:78]
	v_fma_f64 v[58:59], v[58:59], v[44:45], v[79:80]
	v_fma_f64 v[64:65], v[64:65], v[40:41], -v[81:82]
	v_fma_f64 v[66:67], v[66:67], v[40:41], v[83:84]
	v_fma_f64 v[68:69], v[68:69], v[36:37], -v[85:86]
	v_fma_f64 v[72:73], v[72:73], v[32:33], -v[87:88]
	v_fma_f64 v[70:71], v[70:71], v[36:37], v[89:90]
	v_fma_f64 v[74:75], v[74:75], v[32:33], v[91:92]
	v_add_f64 v[77:78], v[60:61], v[56:57]
	v_add_f64 v[95:96], v[62:63], v[58:59]
	v_add_f64 v[87:88], v[56:57], -v[64:65]
	v_add_f64 v[91:92], v[64:65], -v[56:57]
	v_add_f64 v[79:80], v[64:65], v[68:69]
	v_add_f64 v[81:82], v[56:57], v[72:73]
	;; [unrolled: 1-line block ×4, first 2 shown]
	v_add_f64 v[89:90], v[72:73], -v[68:69]
	v_add_f64 v[104:105], v[58:59], -v[66:67]
	;; [unrolled: 1-line block ×7, first 2 shown]
	v_fma_f64 v[56:57], v[79:80], -0.5, v[60:61]
	v_fma_f64 v[60:61], v[81:82], -0.5, v[60:61]
	;; [unrolled: 1-line block ×4, first 2 shown]
	v_add_f64 v[64:65], v[77:78], v[64:65]
	v_add_f64 v[66:67], v[95:96], v[66:67]
	v_add_f64 v[93:94], v[68:69], -v[72:73]
	v_add_f64 v[106:107], v[74:75], -v[70:71]
	;; [unrolled: 1-line block ×3, first 2 shown]
	v_add_f64 v[77:78], v[87:88], v[89:90]
	v_fma_f64 v[87:88], v[58:59], s[18:19], v[56:57]
	v_fma_f64 v[56:57], v[58:59], s[22:23], v[56:57]
	v_add_f64 v[64:65], v[64:65], v[68:69]
	v_fma_f64 v[68:69], v[112:113], s[22:23], v[60:61]
	v_fma_f64 v[60:61], v[112:113], s[18:19], v[60:61]
	;; [unrolled: 3-line block ×3, first 2 shown]
	v_fma_f64 v[62:63], v[116:117], s[22:23], v[62:63]
	v_fma_f64 v[79:80], v[114:115], s[18:19], v[79:80]
	v_add_f64 v[81:82], v[91:92], v[93:94]
	v_add_f64 v[83:84], v[104:105], v[106:107]
	;; [unrolled: 1-line block ×3, first 2 shown]
	v_fma_f64 v[87:88], v[112:113], s[10:11], v[87:88]
	v_fma_f64 v[91:92], v[112:113], s[20:21], v[56:57]
	v_add_f64 v[56:57], v[64:65], v[72:73]
	v_fma_f64 v[64:65], v[58:59], s[10:11], v[68:69]
	v_fma_f64 v[68:69], v[58:59], s[20:21], v[60:61]
	v_add_f64 v[58:59], v[66:67], v[74:75]
	v_fma_f64 v[66:67], v[116:117], s[20:21], v[70:71]
	v_fma_f64 v[70:71], v[114:115], s[20:21], v[89:90]
	v_fma_f64 v[74:75], v[114:115], s[10:11], v[62:63]
	v_fma_f64 v[79:80], v[116:117], s[10:11], v[79:80]
	v_fma_f64 v[60:61], v[77:78], s[16:17], v[87:88]
	v_fma_f64 v[72:73], v[77:78], s[16:17], v[91:92]
	v_fma_f64 v[64:65], v[81:82], s[16:17], v[64:65]
	v_fma_f64 v[68:69], v[81:82], s[16:17], v[68:69]
	v_fma_f64 v[62:63], v[83:84], s[16:17], v[66:67]
	v_fma_f64 v[66:67], v[85:86], s[16:17], v[70:71]
	v_fma_f64 v[70:71], v[85:86], s[16:17], v[74:75]
	v_fma_f64 v[74:75], v[83:84], s[16:17], v[79:80]
	ds_write_b128 v98, v[56:59]
	ds_write_b128 v98, v[60:63] offset:1680
	ds_write_b128 v98, v[64:67] offset:3360
	ds_write_b128 v98, v[68:71] offset:5040
	ds_write_b128 v98, v[72:75] offset:6720
	s_waitcnt lgkmcnt(0)
	s_barrier
	s_and_saveexec_b64 s[8:9], s[0:1]
	s_cbranch_execz .LBB0_13
; %bb.12:
	v_add_co_u32_e32 v91, vcc, s14, v98
	v_mov_b32_e32 v77, s15
	v_addc_co_u32_e32 v92, vcc, 0, v77, vcc
	v_add_co_u32_e32 v89, vcc, 0x20d0, v91
	v_addc_co_u32_e32 v90, vcc, 0, v92, vcc
	v_add_co_u32_e32 v81, vcc, 0x2000, v91
	v_addc_co_u32_e32 v82, vcc, 0, v92, vcc
	global_load_dwordx4 v[81:84], v[81:82], off offset:208
	ds_read_b128 v[77:80], v98
	s_movk_i32 s10, 0x3000
	s_waitcnt vmcnt(0) lgkmcnt(0)
	v_mul_f64 v[85:86], v[79:80], v[83:84]
	v_fma_f64 v[85:86], v[77:78], v[81:82], -v[85:86]
	v_mul_f64 v[77:78], v[77:78], v[83:84]
	v_fma_f64 v[87:88], v[79:80], v[81:82], v[77:78]
	global_load_dwordx4 v[81:84], v[89:90], off offset:1200
	ds_read_b128 v[77:80], v98 offset:1200
	ds_write_b128 v98, v[85:88]
	s_waitcnt vmcnt(0) lgkmcnt(1)
	v_mul_f64 v[85:86], v[79:80], v[83:84]
	v_fma_f64 v[85:86], v[77:78], v[81:82], -v[85:86]
	v_mul_f64 v[77:78], v[77:78], v[83:84]
	v_fma_f64 v[87:88], v[79:80], v[81:82], v[77:78]
	global_load_dwordx4 v[81:84], v[89:90], off offset:2400
	ds_read_b128 v[77:80], v98 offset:2400
	ds_write_b128 v98, v[85:88] offset:1200
	s_waitcnt vmcnt(0) lgkmcnt(1)
	v_mul_f64 v[85:86], v[79:80], v[83:84]
	v_fma_f64 v[85:86], v[77:78], v[81:82], -v[85:86]
	v_mul_f64 v[77:78], v[77:78], v[83:84]
	v_fma_f64 v[87:88], v[79:80], v[81:82], v[77:78]
	global_load_dwordx4 v[81:84], v[89:90], off offset:3600
	ds_read_b128 v[77:80], v98 offset:3600
	v_add_co_u32_e32 v89, vcc, s10, v91
	v_addc_co_u32_e32 v90, vcc, 0, v92, vcc
	ds_write_b128 v98, v[85:88] offset:2400
	s_waitcnt vmcnt(0) lgkmcnt(1)
	v_mul_f64 v[85:86], v[79:80], v[83:84]
	v_fma_f64 v[85:86], v[77:78], v[81:82], -v[85:86]
	v_mul_f64 v[77:78], v[77:78], v[83:84]
	v_fma_f64 v[87:88], v[79:80], v[81:82], v[77:78]
	global_load_dwordx4 v[81:84], v[89:90], off offset:912
	ds_read_b128 v[77:80], v98 offset:4800
	ds_write_b128 v98, v[85:88] offset:3600
	s_waitcnt vmcnt(0) lgkmcnt(1)
	v_mul_f64 v[85:86], v[79:80], v[83:84]
	v_fma_f64 v[85:86], v[77:78], v[81:82], -v[85:86]
	v_mul_f64 v[77:78], v[77:78], v[83:84]
	v_fma_f64 v[87:88], v[79:80], v[81:82], v[77:78]
	global_load_dwordx4 v[81:84], v[89:90], off offset:2112
	ds_read_b128 v[77:80], v98 offset:6000
	ds_write_b128 v98, v[85:88] offset:4800
	s_waitcnt vmcnt(0) lgkmcnt(1)
	v_mul_f64 v[85:86], v[79:80], v[83:84]
	v_fma_f64 v[85:86], v[77:78], v[81:82], -v[85:86]
	v_mul_f64 v[77:78], v[77:78], v[83:84]
	v_fma_f64 v[87:88], v[79:80], v[81:82], v[77:78]
	global_load_dwordx4 v[81:84], v[89:90], off offset:3312
	ds_read_b128 v[77:80], v98 offset:7200
	ds_write_b128 v98, v[85:88] offset:6000
	s_waitcnt vmcnt(0) lgkmcnt(1)
	v_mul_f64 v[85:86], v[79:80], v[83:84]
	v_fma_f64 v[85:86], v[77:78], v[81:82], -v[85:86]
	v_mul_f64 v[77:78], v[77:78], v[83:84]
	v_fma_f64 v[87:88], v[79:80], v[81:82], v[77:78]
	ds_write_b128 v98, v[85:88] offset:7200
.LBB0_13:
	s_or_b64 exec, exec, s[8:9]
	s_waitcnt lgkmcnt(0)
	s_barrier
	s_and_saveexec_b64 s[8:9], s[0:1]
	s_cbranch_execz .LBB0_15
; %bb.14:
	ds_read_b128 v[56:59], v98
	ds_read_b128 v[60:63], v98 offset:1200
	ds_read_b128 v[64:67], v98 offset:2400
	;; [unrolled: 1-line block ×6, first 2 shown]
.LBB0_15:
	s_or_b64 exec, exec, s[8:9]
	s_waitcnt lgkmcnt(0)
	v_add_f64 v[77:78], v[60:61], v[48:49]
	v_add_f64 v[79:80], v[62:63], v[50:51]
	v_add_f64 v[48:49], v[60:61], -v[48:49]
	v_add_f64 v[50:51], v[62:63], -v[50:51]
	v_add_f64 v[60:61], v[64:65], v[52:53]
	v_add_f64 v[62:63], v[66:67], v[54:55]
	v_add_f64 v[52:53], v[64:65], -v[52:53]
	v_add_f64 v[54:55], v[66:67], -v[54:55]
	;; [unrolled: 4-line block ×4, first 2 shown]
	v_add_f64 v[77:78], v[77:78], -v[64:65]
	v_add_f64 v[79:80], v[79:80], -v[66:67]
	;; [unrolled: 1-line block ×4, first 2 shown]
	v_add_f64 v[60:61], v[68:69], v[52:53]
	v_add_f64 v[62:63], v[70:71], v[54:55]
	v_add_f64 v[85:86], v[68:69], -v[52:53]
	v_add_f64 v[87:88], v[70:71], -v[54:55]
	v_add_f64 v[93:94], v[64:65], v[72:73]
	v_add_f64 v[95:96], v[66:67], v[74:75]
	v_add_f64 v[52:53], v[52:53], -v[48:49]
	v_add_f64 v[54:55], v[54:55], -v[50:51]
	s_mov_b32 s8, 0x37e14327
	s_mov_b32 s9, 0x3fe948f6
	v_add_f64 v[64:65], v[48:49], -v[68:69]
	v_mul_f64 v[68:69], v[77:78], s[8:9]
	v_mul_f64 v[74:75], v[79:80], s[8:9]
	s_mov_b32 s8, 0x36b3c0b5
	s_mov_b32 s9, 0x3fac98ee
	v_mul_f64 v[77:78], v[81:82], s[8:9]
	v_mul_f64 v[79:80], v[83:84], s[8:9]
	s_mov_b32 s8, 0xe976ee23
	s_mov_b32 s9, 0x3fe11646
	v_add_f64 v[66:67], v[50:51], -v[70:71]
	v_add_f64 v[70:71], v[60:61], v[48:49]
	v_add_f64 v[72:73], v[62:63], v[50:51]
	;; [unrolled: 1-line block ×4, first 2 shown]
	v_mul_f64 v[83:84], v[85:86], s[8:9]
	v_mul_f64 v[81:82], v[87:88], s[8:9]
	s_mov_b32 s8, 0x429ad128
	s_mov_b32 s9, 0xbfebfeb5
	v_mul_f64 v[48:49], v[52:53], s[8:9]
	v_mul_f64 v[50:51], v[54:55], s[8:9]
	s_mov_b32 s18, 0xaaaaaaaa
	s_mov_b32 s19, 0xbff2aaaa
	v_fma_f64 v[85:86], v[93:94], s[18:19], v[60:61]
	v_fma_f64 v[87:88], v[95:96], s[18:19], v[62:63]
	s_mov_b32 s19, 0x3fe77f67
	s_mov_b32 s18, 0x5476071b
	;; [unrolled: 1-line block ×3, first 2 shown]
	v_fma_f64 v[56:57], v[89:90], s[18:19], -v[77:78]
	v_fma_f64 v[58:59], v[91:92], s[18:19], -v[79:80]
	s_mov_b32 s19, 0xbfe77f67
	s_mov_b32 s17, 0x3fd5d0dc
	v_fma_f64 v[89:90], v[89:90], s[18:19], -v[68:69]
	v_fma_f64 v[54:55], v[54:55], s[8:9], -v[81:82]
	;; [unrolled: 1-line block ×6, first 2 shown]
	s_mov_b32 s10, 0x37c3f68c
	s_mov_b32 s11, 0xbfdc38aa
	v_add_f64 v[56:57], v[56:57], v[85:86]
	v_add_f64 v[58:59], v[58:59], v[87:88]
	v_fma_f64 v[54:55], v[72:73], s[10:11], v[54:55]
	v_fma_f64 v[104:105], v[70:71], s[10:11], v[52:53]
	v_add_f64 v[89:90], v[89:90], v[85:86]
	v_add_f64 v[93:94], v[91:92], v[87:88]
	v_fma_f64 v[91:92], v[72:73], s[10:11], v[50:51]
	v_fma_f64 v[95:96], v[70:71], s[10:11], v[48:49]
	s_barrier
	v_add_f64 v[48:49], v[56:57], -v[54:55]
	v_add_f64 v[50:51], v[104:105], v[58:59]
	v_add_f64 v[52:53], v[56:57], v[54:55]
	v_add_f64 v[54:55], v[58:59], -v[104:105]
	v_add_f64 v[56:57], v[89:90], -v[91:92]
	v_add_f64 v[58:59], v[95:96], v[93:94]
	s_and_saveexec_b64 s[8:9], s[0:1]
	s_cbranch_execz .LBB0_17
; %bb.16:
	s_mov_b32 s17, 0xbfd5d0dc
	v_mul_f64 v[64:65], v[64:65], s[16:17]
	v_mul_f64 v[66:67], v[66:67], s[16:17]
	;; [unrolled: 1-line block ×4, first 2 shown]
	v_add_f64 v[74:75], v[79:80], v[74:75]
	v_add_f64 v[68:69], v[77:78], v[68:69]
	;; [unrolled: 1-line block ×8, first 2 shown]
	v_add_f64 v[66:67], v[93:94], -v[95:96]
	v_add_f64 v[64:65], v[89:90], v[91:92]
	v_add_f64 v[70:71], v[77:78], v[74:75]
	v_add_f64 v[74:75], v[74:75], -v[77:78]
	v_add_f64 v[72:73], v[68:69], v[79:80]
	v_add_f64 v[68:69], v[68:69], -v[79:80]
	v_lshlrev_b32_e32 v77, 4, v100
	ds_write_b128 v77, v[60:63]
	ds_write_b128 v77, v[48:51] offset:48
	ds_write_b128 v77, v[52:55] offset:64
	;; [unrolled: 1-line block ×6, first 2 shown]
.LBB0_17:
	s_or_b64 exec, exec, s[8:9]
	s_waitcnt lgkmcnt(0)
	s_barrier
	ds_read_b128 v[60:63], v98
	ds_read_b128 v[68:71], v98 offset:2800
	ds_read_b128 v[64:67], v98 offset:5600
	s_and_saveexec_b64 s[8:9], s[2:3]
	s_cbranch_execz .LBB0_19
; %bb.18:
	ds_read_b128 v[48:51], v98 offset:1680
	ds_read_b128 v[52:55], v98 offset:4480
	;; [unrolled: 1-line block ×3, first 2 shown]
.LBB0_19:
	s_or_b64 exec, exec, s[8:9]
	s_waitcnt lgkmcnt(1)
	v_mul_f64 v[72:73], v[14:15], v[70:71]
	v_mul_f64 v[14:15], v[14:15], v[68:69]
	s_waitcnt lgkmcnt(0)
	v_mul_f64 v[74:75], v[10:11], v[66:67]
	v_mul_f64 v[10:11], v[10:11], v[64:65]
	s_mov_b32 s8, 0xe8584caa
	s_mov_b32 s9, 0xbfebb67a
	s_mov_b32 s11, 0x3febb67a
	s_mov_b32 s10, s8
	v_fma_f64 v[68:69], v[12:13], v[68:69], v[72:73]
	v_fma_f64 v[12:13], v[12:13], v[70:71], -v[14:15]
	v_fma_f64 v[14:15], v[8:9], v[64:65], v[74:75]
	v_fma_f64 v[10:11], v[8:9], v[66:67], -v[10:11]
	s_barrier
	v_add_f64 v[66:67], v[60:61], v[68:69]
	v_add_f64 v[8:9], v[68:69], v[14:15]
	;; [unrolled: 1-line block ×3, first 2 shown]
	v_add_f64 v[70:71], v[12:13], -v[10:11]
	v_add_f64 v[12:13], v[62:63], v[12:13]
	v_add_f64 v[68:69], v[68:69], -v[14:15]
	v_fma_f64 v[60:61], v[8:9], -0.5, v[60:61]
	v_fma_f64 v[62:63], v[64:65], -0.5, v[62:63]
	v_add_f64 v[8:9], v[66:67], v[14:15]
	v_add_f64 v[10:11], v[12:13], v[10:11]
	v_fma_f64 v[12:13], v[70:71], s[8:9], v[60:61]
	v_fma_f64 v[14:15], v[68:69], s[10:11], v[62:63]
	;; [unrolled: 1-line block ×4, first 2 shown]
	ds_write_b128 v102, v[8:11]
	ds_write_b128 v102, v[12:15] offset:112
	ds_write_b128 v102, v[60:63] offset:224
	s_and_saveexec_b64 s[16:17], s[2:3]
	s_cbranch_execz .LBB0_21
; %bb.20:
	v_mul_f64 v[8:9], v[6:7], v[52:53]
	v_mul_f64 v[10:11], v[2:3], v[56:57]
	;; [unrolled: 1-line block ×4, first 2 shown]
	v_fma_f64 v[8:9], v[4:5], v[54:55], -v[8:9]
	v_fma_f64 v[10:11], v[0:1], v[58:59], -v[10:11]
	v_fma_f64 v[4:5], v[4:5], v[52:53], v[6:7]
	v_fma_f64 v[0:1], v[0:1], v[56:57], v[2:3]
	v_add_f64 v[14:15], v[50:51], v[8:9]
	v_add_f64 v[2:3], v[8:9], v[10:11]
	v_add_f64 v[52:53], v[8:9], -v[10:11]
	v_add_f64 v[6:7], v[4:5], v[0:1]
	v_add_f64 v[12:13], v[4:5], -v[0:1]
	v_add_f64 v[4:5], v[48:49], v[4:5]
	v_fma_f64 v[50:51], v[2:3], -0.5, v[50:51]
	v_add_f64 v[2:3], v[14:15], v[10:11]
	v_fma_f64 v[48:49], v[6:7], -0.5, v[48:49]
	v_add_f64 v[0:1], v[4:5], v[0:1]
	v_fma_f64 v[10:11], v[12:13], s[10:11], v[50:51]
	v_fma_f64 v[6:7], v[12:13], s[8:9], v[50:51]
	;; [unrolled: 1-line block ×4, first 2 shown]
	v_add_lshl_u32 v12, v101, v99, 4
	ds_write_b128 v12, v[0:3]
	ds_write_b128 v12, v[8:11] offset:112
	ds_write_b128 v12, v[4:7] offset:224
.LBB0_21:
	s_or_b64 exec, exec, s[16:17]
	s_waitcnt lgkmcnt(0)
	s_barrier
	ds_read_b128 v[0:3], v98 offset:3360
	ds_read_b128 v[4:7], v98 offset:5040
	;; [unrolled: 1-line block ×4, first 2 shown]
	s_mov_b32 s2, 0x134454ff
	s_waitcnt lgkmcnt(3)
	v_mul_f64 v[48:49], v[26:27], v[2:3]
	s_waitcnt lgkmcnt(2)
	v_mul_f64 v[50:51], v[22:23], v[6:7]
	;; [unrolled: 2-line block ×3, first 2 shown]
	v_mul_f64 v[30:31], v[30:31], v[8:9]
	s_mov_b32 s3, 0xbfee6f0e
	s_mov_b32 s8, 0x4755a5e
	;; [unrolled: 1-line block ×4, first 2 shown]
	v_fma_f64 v[56:57], v[24:25], v[0:1], v[48:49]
	v_fma_f64 v[58:59], v[20:21], v[4:5], v[50:51]
	ds_read_b128 v[48:51], v98
	s_waitcnt lgkmcnt(1)
	v_mul_f64 v[54:55], v[18:19], v[12:13]
	v_mul_f64 v[0:1], v[26:27], v[0:1]
	;; [unrolled: 1-line block ×4, first 2 shown]
	v_fma_f64 v[10:11], v[28:29], v[10:11], -v[30:31]
	v_fma_f64 v[8:9], v[28:29], v[8:9], v[52:53]
	v_add_f64 v[22:23], v[56:57], v[58:59]
	s_mov_b32 s18, s2
	v_fma_f64 v[14:15], v[16:17], v[14:15], -v[54:55]
	v_fma_f64 v[2:3], v[24:25], v[2:3], -v[0:1]
	;; [unrolled: 1-line block ×3, first 2 shown]
	v_fma_f64 v[12:13], v[16:17], v[12:13], v[18:19]
	s_mov_b32 s10, 0x372fe950
	s_waitcnt lgkmcnt(0)
	v_add_f64 v[0:1], v[48:49], v[8:9]
	v_fma_f64 v[4:5], v[22:23], -0.5, v[48:49]
	v_add_f64 v[20:21], v[8:9], -v[56:57]
	v_add_f64 v[16:17], v[10:11], -v[14:15]
	v_add_f64 v[28:29], v[10:11], v[14:15]
	v_add_f64 v[18:19], v[2:3], -v[6:7]
	v_add_f64 v[22:23], v[12:13], -v[58:59]
	v_add_f64 v[24:25], v[8:9], v[12:13]
	v_add_f64 v[0:1], v[0:1], v[56:57]
	s_mov_b32 s11, 0x3fd3c6ef
	v_add_f64 v[54:55], v[50:51], v[10:11]
	v_fma_f64 v[26:27], v[16:17], s[2:3], v[4:5]
	v_fma_f64 v[30:31], v[16:17], s[18:19], v[4:5]
	s_mov_b32 s17, 0x3fe2cf23
	v_add_f64 v[20:21], v[20:21], v[22:23]
	v_fma_f64 v[22:23], v[24:25], -0.5, v[48:49]
	v_add_f64 v[0:1], v[0:1], v[58:59]
	s_mov_b32 s16, s8
	v_add_f64 v[52:53], v[58:59], -v[12:13]
	v_fma_f64 v[24:25], v[18:19], s[8:9], v[26:27]
	v_add_f64 v[26:27], v[2:3], v[6:7]
	v_fma_f64 v[28:29], v[28:29], -0.5, v[50:51]
	v_fma_f64 v[48:49], v[18:19], s[18:19], v[22:23]
	v_add_f64 v[0:1], v[0:1], v[12:13]
	s_barrier
	v_fma_f64 v[4:5], v[20:21], s[10:11], v[24:25]
	v_add_f64 v[24:25], v[56:57], -v[8:9]
	v_fma_f64 v[26:27], v[26:27], -0.5, v[50:51]
	v_add_f64 v[8:9], v[8:9], -v[12:13]
	v_fma_f64 v[12:13], v[18:19], s[16:17], v[30:31]
	v_add_f64 v[30:31], v[56:57], -v[58:59]
	v_fma_f64 v[18:19], v[18:19], s[2:3], v[22:23]
	v_add_f64 v[22:23], v[54:55], v[2:3]
	v_add_f64 v[54:55], v[14:15], -v[6:7]
	v_add_f64 v[24:25], v[24:25], v[52:53]
	v_add_f64 v[52:53], v[10:11], -v[2:3]
	v_fma_f64 v[50:51], v[8:9], s[18:19], v[26:27]
	v_add_f64 v[2:3], v[2:3], -v[10:11]
	v_fma_f64 v[56:57], v[30:31], s[2:3], v[28:29]
	;; [unrolled: 2-line block ×3, first 2 shown]
	v_fma_f64 v[26:27], v[8:9], s[2:3], v[26:27]
	v_add_f64 v[6:7], v[22:23], v[6:7]
	v_fma_f64 v[48:49], v[16:17], s[8:9], v[48:49]
	v_fma_f64 v[16:17], v[16:17], s[16:17], v[18:19]
	;; [unrolled: 1-line block ×3, first 2 shown]
	v_add_f64 v[22:23], v[52:53], v[54:55]
	v_fma_f64 v[50:51], v[8:9], s[16:17], v[56:57]
	v_add_f64 v[10:11], v[2:3], v[10:11]
	v_fma_f64 v[28:29], v[8:9], s[8:9], v[28:29]
	v_fma_f64 v[26:27], v[30:31], s[8:9], v[26:27]
	v_add_f64 v[2:3], v[6:7], v[14:15]
	v_fma_f64 v[8:9], v[20:21], s[10:11], v[12:13]
	v_fma_f64 v[12:13], v[24:25], s[10:11], v[48:49]
	;; [unrolled: 1-line block ×7, first 2 shown]
	ds_write_b128 v103, v[0:3]
	ds_write_b128 v103, v[4:7] offset:336
	ds_write_b128 v103, v[12:15] offset:672
	;; [unrolled: 1-line block ×4, first 2 shown]
	s_waitcnt lgkmcnt(0)
	s_barrier
	ds_read_b128 v[0:3], v98 offset:3360
	ds_read_b128 v[4:7], v98 offset:5040
	;; [unrolled: 1-line block ×4, first 2 shown]
	s_waitcnt lgkmcnt(3)
	v_mul_f64 v[16:17], v[42:43], v[2:3]
	s_waitcnt lgkmcnt(2)
	v_mul_f64 v[18:19], v[38:39], v[6:7]
	;; [unrolled: 2-line block ×3, first 2 shown]
	v_mul_f64 v[20:21], v[46:47], v[10:11]
	v_fma_f64 v[24:25], v[40:41], v[0:1], v[16:17]
	v_fma_f64 v[26:27], v[36:37], v[4:5], v[18:19]
	ds_read_b128 v[16:19], v98
	s_waitcnt lgkmcnt(1)
	v_mul_f64 v[28:29], v[34:35], v[12:13]
	v_fma_f64 v[10:11], v[44:45], v[10:11], -v[22:23]
	v_fma_f64 v[8:9], v[44:45], v[8:9], v[20:21]
	v_mul_f64 v[0:1], v[42:43], v[0:1]
	v_mul_f64 v[4:5], v[38:39], v[4:5]
	v_add_f64 v[20:21], v[24:25], v[26:27]
	v_fma_f64 v[22:23], v[32:33], v[14:15], -v[28:29]
	v_mul_f64 v[14:15], v[34:35], v[14:15]
	v_add_f64 v[30:31], v[8:9], -v[24:25]
	v_fma_f64 v[2:3], v[40:41], v[2:3], -v[0:1]
	s_waitcnt lgkmcnt(0)
	v_add_f64 v[0:1], v[16:17], v[8:9]
	v_fma_f64 v[6:7], v[36:37], v[6:7], -v[4:5]
	v_fma_f64 v[20:21], v[20:21], -0.5, v[16:17]
	v_add_f64 v[42:43], v[18:19], v[10:11]
	v_add_f64 v[28:29], v[10:11], -v[22:23]
	v_fma_f64 v[12:13], v[32:33], v[12:13], v[14:15]
	v_add_f64 v[36:37], v[10:11], v[22:23]
	v_add_f64 v[38:39], v[24:25], -v[8:9]
	v_add_f64 v[0:1], v[0:1], v[24:25]
	v_add_f64 v[14:15], v[2:3], -v[6:7]
	v_fma_f64 v[4:5], v[28:29], s[2:3], v[20:21]
	v_add_f64 v[32:33], v[12:13], -v[26:27]
	v_add_f64 v[34:35], v[8:9], v[12:13]
	v_fma_f64 v[20:21], v[28:29], s[18:19], v[20:21]
	v_add_f64 v[0:1], v[0:1], v[26:27]
	v_add_f64 v[40:41], v[26:27], -v[12:13]
	v_add_f64 v[8:9], v[8:9], -v[12:13]
	v_fma_f64 v[4:5], v[14:15], s[8:9], v[4:5]
	v_add_f64 v[30:31], v[30:31], v[32:33]
	v_fma_f64 v[16:17], v[34:35], -0.5, v[16:17]
	v_add_f64 v[32:33], v[2:3], v[6:7]
	v_add_f64 v[0:1], v[0:1], v[12:13]
	v_fma_f64 v[12:13], v[14:15], s[16:17], v[20:21]
	v_add_f64 v[20:21], v[24:25], -v[26:27]
	v_add_f64 v[26:27], v[38:39], v[40:41]
	v_add_f64 v[38:39], v[22:23], -v[6:7]
	v_fma_f64 v[4:5], v[30:31], s[10:11], v[4:5]
	v_fma_f64 v[34:35], v[14:15], s[18:19], v[16:17]
	v_fma_f64 v[32:33], v[32:33], -0.5, v[18:19]
	v_fma_f64 v[18:19], v[36:37], -0.5, v[18:19]
	v_fma_f64 v[14:15], v[14:15], s[2:3], v[16:17]
	v_add_f64 v[16:17], v[42:43], v[2:3]
	v_add_f64 v[36:37], v[10:11], -v[2:3]
	v_add_f64 v[2:3], v[2:3], -v[10:11]
	;; [unrolled: 1-line block ×3, first 2 shown]
	v_fma_f64 v[24:25], v[28:29], s[8:9], v[34:35]
	v_fma_f64 v[34:35], v[8:9], s[18:19], v[32:33]
	;; [unrolled: 1-line block ×5, first 2 shown]
	v_add_f64 v[6:7], v[16:17], v[6:7]
	v_fma_f64 v[14:15], v[28:29], s[16:17], v[14:15]
	v_add_f64 v[10:11], v[2:3], v[10:11]
	v_fma_f64 v[28:29], v[20:21], s[16:17], v[34:35]
	;; [unrolled: 2-line block ×3, first 2 shown]
	v_fma_f64 v[18:19], v[8:9], s[8:9], v[18:19]
	v_fma_f64 v[20:21], v[20:21], s[8:9], v[32:33]
	v_add_f64 v[2:3], v[6:7], v[22:23]
	v_fma_f64 v[8:9], v[30:31], s[10:11], v[12:13]
	v_fma_f64 v[12:13], v[26:27], s[10:11], v[24:25]
	;; [unrolled: 1-line block ×7, first 2 shown]
	ds_write_b128 v98, v[0:3]
	ds_write_b128 v98, v[4:7] offset:1680
	ds_write_b128 v98, v[12:15] offset:3360
	;; [unrolled: 1-line block ×4, first 2 shown]
	s_waitcnt lgkmcnt(0)
	s_barrier
	s_and_b64 exec, exec, s[0:1]
	s_cbranch_execz .LBB0_23
; %bb.22:
	v_mov_b32_e32 v0, s15
	v_add_co_u32_e32 v16, vcc, s14, v98
	v_addc_co_u32_e32 v17, vcc, 0, v0, vcc
	global_load_dwordx4 v[0:3], v98, s[14:15]
	global_load_dwordx4 v[4:7], v98, s[14:15] offset:1200
	global_load_dwordx4 v[8:11], v98, s[14:15] offset:2400
	;; [unrolled: 1-line block ×3, first 2 shown]
	s_movk_i32 s0, 0x1000
	v_add_co_u32_e32 v24, vcc, s0, v16
	v_addc_co_u32_e32 v25, vcc, 0, v17, vcc
	global_load_dwordx4 v[16:19], v[24:25], off offset:704
	global_load_dwordx4 v[20:23], v[24:25], off offset:1904
	v_mad_u64_u32 v[56:57], s[0:1], s6, v76, 0
	global_load_dwordx4 v[24:27], v[24:25], off offset:3104
	v_mad_u64_u32 v[58:59], s[2:3], s4, v97, 0
	s_mul_i32 s2, s5, 0x4b0
	s_mul_hi_u32 s3, s4, 0x4b0
	s_add_i32 s6, s3, s2
	v_mad_u64_u32 v[60:61], s[2:3], s7, v76, v[57:58]
	v_mov_b32_e32 v63, s13
	s_mulk_i32 s4, 0x4b0
	v_mad_u64_u32 v[61:62], s[2:3], s5, v97, v[59:60]
	v_mov_b32_e32 v57, v60
	v_lshlrev_b64 v[56:57], 4, v[56:57]
	v_mov_b32_e32 v59, v61
	v_lshlrev_b64 v[58:59], 4, v[58:59]
	v_add_co_u32_e32 v56, vcc, s12, v56
	v_addc_co_u32_e32 v57, vcc, v63, v57, vcc
	v_add_co_u32_e32 v56, vcc, v56, v58
	v_addc_co_u32_e32 v57, vcc, v57, v59, vcc
	v_mov_b32_e32 v64, s6
	v_add_co_u32_e32 v58, vcc, s4, v56
	ds_read_b128 v[28:31], v98
	ds_read_b128 v[32:35], v98 offset:1200
	v_addc_co_u32_e32 v59, vcc, v57, v64, vcc
	v_mov_b32_e32 v62, s6
	v_add_co_u32_e32 v60, vcc, s4, v58
	v_addc_co_u32_e32 v61, vcc, v59, v62, vcc
	v_mov_b32_e32 v65, s6
	v_add_co_u32_e32 v62, vcc, s4, v60
	v_addc_co_u32_e32 v63, vcc, v61, v65, vcc
	ds_read_b128 v[36:39], v98 offset:2400
	ds_read_b128 v[40:43], v98 offset:3600
	ds_read_b128 v[44:47], v98 offset:4800
	ds_read_b128 v[48:51], v98 offset:6000
	ds_read_b128 v[52:55], v98 offset:7200
	s_mov_b32 s0, 0x859b8cec
	s_mov_b32 s1, 0x3f5f3526
	s_waitcnt vmcnt(6) lgkmcnt(6)
	v_mul_f64 v[64:65], v[30:31], v[2:3]
	v_mul_f64 v[2:3], v[28:29], v[2:3]
	s_waitcnt vmcnt(5) lgkmcnt(5)
	v_mul_f64 v[66:67], v[34:35], v[6:7]
	v_mul_f64 v[6:7], v[32:33], v[6:7]
	;; [unrolled: 3-line block ×4, first 2 shown]
	v_fma_f64 v[28:29], v[28:29], v[0:1], v[64:65]
	v_fma_f64 v[2:3], v[0:1], v[30:31], -v[2:3]
	v_fma_f64 v[30:31], v[32:33], v[4:5], v[66:67]
	v_fma_f64 v[6:7], v[4:5], v[34:35], -v[6:7]
	;; [unrolled: 2-line block ×4, first 2 shown]
	s_waitcnt vmcnt(2) lgkmcnt(2)
	v_mul_f64 v[72:73], v[46:47], v[18:19]
	v_mul_f64 v[18:19], v[44:45], v[18:19]
	s_waitcnt vmcnt(1) lgkmcnt(1)
	v_mul_f64 v[74:75], v[50:51], v[22:23]
	v_mul_f64 v[22:23], v[48:49], v[22:23]
	;; [unrolled: 1-line block ×8, first 2 shown]
	s_waitcnt vmcnt(0) lgkmcnt(0)
	v_mul_f64 v[28:29], v[54:55], v[26:27]
	v_mul_f64 v[26:27], v[52:53], v[26:27]
	;; [unrolled: 1-line block ×4, first 2 shown]
	v_fma_f64 v[36:37], v[44:45], v[16:17], v[72:73]
	v_fma_f64 v[18:19], v[16:17], v[46:47], -v[18:19]
	global_store_dwordx4 v[56:57], v[0:3], off
	global_store_dwordx4 v[58:59], v[4:7], off
	;; [unrolled: 1-line block ×4, first 2 shown]
	v_fma_f64 v[0:1], v[48:49], v[20:21], v[74:75]
	v_fma_f64 v[2:3], v[20:21], v[50:51], -v[22:23]
	v_fma_f64 v[4:5], v[52:53], v[24:25], v[28:29]
	v_fma_f64 v[6:7], v[24:25], v[54:55], -v[26:27]
	v_mul_f64 v[16:17], v[36:37], s[0:1]
	v_mul_f64 v[18:19], v[18:19], s[0:1]
	v_mov_b32_e32 v9, s6
	v_add_co_u32_e32 v8, vcc, s4, v62
	v_mul_f64 v[0:1], v[0:1], s[0:1]
	v_mul_f64 v[2:3], v[2:3], s[0:1]
	;; [unrolled: 1-line block ×4, first 2 shown]
	v_addc_co_u32_e32 v9, vcc, v63, v9, vcc
	global_store_dwordx4 v[8:9], v[16:19], off
	v_mov_b32_e32 v10, s6
	v_add_co_u32_e32 v8, vcc, s4, v8
	v_addc_co_u32_e32 v9, vcc, v9, v10, vcc
	global_store_dwordx4 v[8:9], v[0:3], off
	s_nop 0
	v_mov_b32_e32 v1, s6
	v_add_co_u32_e32 v0, vcc, s4, v8
	v_addc_co_u32_e32 v1, vcc, v9, v1, vcc
	global_store_dwordx4 v[0:1], v[4:7], off
.LBB0_23:
	s_endpgm
	.section	.rodata,"a",@progbits
	.p2align	6, 0x0
	.amdhsa_kernel bluestein_single_fwd_len525_dim1_dp_op_CI_CI
		.amdhsa_group_segment_fixed_size 8400
		.amdhsa_private_segment_fixed_size 0
		.amdhsa_kernarg_size 104
		.amdhsa_user_sgpr_count 6
		.amdhsa_user_sgpr_private_segment_buffer 1
		.amdhsa_user_sgpr_dispatch_ptr 0
		.amdhsa_user_sgpr_queue_ptr 0
		.amdhsa_user_sgpr_kernarg_segment_ptr 1
		.amdhsa_user_sgpr_dispatch_id 0
		.amdhsa_user_sgpr_flat_scratch_init 0
		.amdhsa_user_sgpr_private_segment_size 0
		.amdhsa_uses_dynamic_stack 0
		.amdhsa_system_sgpr_private_segment_wavefront_offset 0
		.amdhsa_system_sgpr_workgroup_id_x 1
		.amdhsa_system_sgpr_workgroup_id_y 0
		.amdhsa_system_sgpr_workgroup_id_z 0
		.amdhsa_system_sgpr_workgroup_info 0
		.amdhsa_system_vgpr_workitem_id 0
		.amdhsa_next_free_vgpr 118
		.amdhsa_next_free_sgpr 25
		.amdhsa_reserve_vcc 1
		.amdhsa_reserve_flat_scratch 0
		.amdhsa_float_round_mode_32 0
		.amdhsa_float_round_mode_16_64 0
		.amdhsa_float_denorm_mode_32 3
		.amdhsa_float_denorm_mode_16_64 3
		.amdhsa_dx10_clamp 1
		.amdhsa_ieee_mode 1
		.amdhsa_fp16_overflow 0
		.amdhsa_exception_fp_ieee_invalid_op 0
		.amdhsa_exception_fp_denorm_src 0
		.amdhsa_exception_fp_ieee_div_zero 0
		.amdhsa_exception_fp_ieee_overflow 0
		.amdhsa_exception_fp_ieee_underflow 0
		.amdhsa_exception_fp_ieee_inexact 0
		.amdhsa_exception_int_div_zero 0
	.end_amdhsa_kernel
	.text
.Lfunc_end0:
	.size	bluestein_single_fwd_len525_dim1_dp_op_CI_CI, .Lfunc_end0-bluestein_single_fwd_len525_dim1_dp_op_CI_CI
                                        ; -- End function
	.section	.AMDGPU.csdata,"",@progbits
; Kernel info:
; codeLenInByte = 8232
; NumSgprs: 29
; NumVgprs: 118
; ScratchSize: 0
; MemoryBound: 0
; FloatMode: 240
; IeeeMode: 1
; LDSByteSize: 8400 bytes/workgroup (compile time only)
; SGPRBlocks: 3
; VGPRBlocks: 29
; NumSGPRsForWavesPerEU: 29
; NumVGPRsForWavesPerEU: 118
; Occupancy: 2
; WaveLimiterHint : 1
; COMPUTE_PGM_RSRC2:SCRATCH_EN: 0
; COMPUTE_PGM_RSRC2:USER_SGPR: 6
; COMPUTE_PGM_RSRC2:TRAP_HANDLER: 0
; COMPUTE_PGM_RSRC2:TGID_X_EN: 1
; COMPUTE_PGM_RSRC2:TGID_Y_EN: 0
; COMPUTE_PGM_RSRC2:TGID_Z_EN: 0
; COMPUTE_PGM_RSRC2:TIDIG_COMP_CNT: 0
	.type	__hip_cuid_66f39068fdda7837,@object ; @__hip_cuid_66f39068fdda7837
	.section	.bss,"aw",@nobits
	.globl	__hip_cuid_66f39068fdda7837
__hip_cuid_66f39068fdda7837:
	.byte	0                               ; 0x0
	.size	__hip_cuid_66f39068fdda7837, 1

	.ident	"AMD clang version 19.0.0git (https://github.com/RadeonOpenCompute/llvm-project roc-6.4.0 25133 c7fe45cf4b819c5991fe208aaa96edf142730f1d)"
	.section	".note.GNU-stack","",@progbits
	.addrsig
	.addrsig_sym __hip_cuid_66f39068fdda7837
	.amdgpu_metadata
---
amdhsa.kernels:
  - .args:
      - .actual_access:  read_only
        .address_space:  global
        .offset:         0
        .size:           8
        .value_kind:     global_buffer
      - .actual_access:  read_only
        .address_space:  global
        .offset:         8
        .size:           8
        .value_kind:     global_buffer
      - .actual_access:  read_only
        .address_space:  global
        .offset:         16
        .size:           8
        .value_kind:     global_buffer
      - .actual_access:  read_only
        .address_space:  global
        .offset:         24
        .size:           8
        .value_kind:     global_buffer
      - .actual_access:  read_only
        .address_space:  global
        .offset:         32
        .size:           8
        .value_kind:     global_buffer
      - .offset:         40
        .size:           8
        .value_kind:     by_value
      - .address_space:  global
        .offset:         48
        .size:           8
        .value_kind:     global_buffer
      - .address_space:  global
        .offset:         56
        .size:           8
        .value_kind:     global_buffer
      - .address_space:  global
        .offset:         64
        .size:           8
        .value_kind:     global_buffer
      - .address_space:  global
        .offset:         72
        .size:           8
        .value_kind:     global_buffer
      - .offset:         80
        .size:           4
        .value_kind:     by_value
      - .address_space:  global
        .offset:         88
        .size:           8
        .value_kind:     global_buffer
      - .address_space:  global
        .offset:         96
        .size:           8
        .value_kind:     global_buffer
    .group_segment_fixed_size: 8400
    .kernarg_segment_align: 8
    .kernarg_segment_size: 104
    .language:       OpenCL C
    .language_version:
      - 2
      - 0
    .max_flat_workgroup_size: 105
    .name:           bluestein_single_fwd_len525_dim1_dp_op_CI_CI
    .private_segment_fixed_size: 0
    .sgpr_count:     29
    .sgpr_spill_count: 0
    .symbol:         bluestein_single_fwd_len525_dim1_dp_op_CI_CI.kd
    .uniform_work_group_size: 1
    .uses_dynamic_stack: false
    .vgpr_count:     118
    .vgpr_spill_count: 0
    .wavefront_size: 64
amdhsa.target:   amdgcn-amd-amdhsa--gfx906
amdhsa.version:
  - 1
  - 2
...

	.end_amdgpu_metadata
